;; amdgpu-corpus repo=zjin-lcf/HeCBench kind=compiled arch=gfx906 opt=O3
	.amdgcn_target "amdgcn-amd-amdhsa--gfx906"
	.amdhsa_code_object_version 6
	.text
	.protected	_Z15jk3_hash_kernelPKjS0_S0_Pji ; -- Begin function _Z15jk3_hash_kernelPKjS0_S0_Pji
	.globl	_Z15jk3_hash_kernelPKjS0_S0_Pji
	.p2align	8
	.type	_Z15jk3_hash_kernelPKjS0_S0_Pji,@function
_Z15jk3_hash_kernelPKjS0_S0_Pji:        ; @_Z15jk3_hash_kernelPKjS0_S0_Pji
; %bb.0:
	s_load_dword s0, s[4:5], 0x34
	s_load_dword s1, s[4:5], 0x20
	s_waitcnt lgkmcnt(0)
	s_and_b32 s0, s0, 0xffff
	s_mul_i32 s6, s6, s0
	v_add_u32_e32 v0, s6, v0
	v_cmp_gt_i32_e32 vcc, s1, v0
	s_and_saveexec_b64 s[0:1], vcc
	s_cbranch_execz .LBB0_10
; %bb.1:
	s_load_dwordx8 s[8:15], s[4:5], 0x0
	v_ashrrev_i32_e32 v1, 31, v0
	v_lshlrev_b64 v[3:4], 2, v[0:1]
	v_lshlrev_b32_e32 v0, 4, v0
	s_mov_b32 s0, 0xdeadbeef
	s_waitcnt lgkmcnt(0)
	v_mov_b32_e32 v2, s9
	v_add_co_u32_e32 v1, vcc, s8, v3
	v_addc_co_u32_e32 v2, vcc, v2, v4, vcc
	global_load_dword v8, v[1:2], off
	v_mov_b32_e32 v2, s11
	v_add_co_u32_e32 v1, vcc, s10, v3
	v_addc_co_u32_e32 v2, vcc, v2, v4, vcc
	global_load_dword v2, v[1:2], off
	v_ashrrev_i32_e32 v1, 31, v0
	v_lshlrev_b64 v[0:1], 2, v[0:1]
	v_mov_b32_e32 v5, s13
	v_add_co_u32_e32 v0, vcc, s12, v0
	v_addc_co_u32_e32 v1, vcc, v5, v1, vcc
	s_waitcnt vmcnt(1)
	v_cmp_lt_u32_e32 vcc, 12, v8
	s_waitcnt vmcnt(0)
	v_add3_u32 v5, v8, v2, s0
	v_mov_b32_e32 v6, v5
	v_mov_b32_e32 v7, v5
	s_and_saveexec_b64 s[0:1], vcc
	s_cbranch_execz .LBB0_5
; %bb.2:
	s_mov_b64 s[2:3], 0
	v_mov_b32_e32 v6, v5
	v_mov_b32_e32 v7, v5
.LBB0_3:                                ; =>This Inner Loop Header: Depth=1
	global_load_dwordx3 v[9:11], v[0:1], off
	v_add_co_u32_e32 v0, vcc, 12, v0
	v_add_u32_e32 v8, -12, v8
	v_addc_co_u32_e32 v1, vcc, 0, v1, vcc
	v_cmp_gt_u32_e32 vcc, 13, v8
	s_or_b64 s[2:3], vcc, s[2:3]
	s_waitcnt vmcnt(0)
	v_add_u32_e32 v2, v9, v7
	v_add_u32_e32 v5, v11, v5
	v_sub_u32_e32 v2, v2, v5
	v_alignbit_b32 v7, v5, v5, 28
	v_add_u32_e32 v6, v10, v6
	v_xor_b32_e32 v2, v2, v7
	v_add_u32_e32 v5, v5, v6
	v_sub_u32_e32 v6, v6, v2
	v_alignbit_b32 v7, v2, v2, 26
	v_xor_b32_e32 v6, v6, v7
	v_add_u32_e32 v2, v2, v5
	v_sub_u32_e32 v5, v5, v6
	v_alignbit_b32 v7, v6, v6, 24
	;; [unrolled: 4-line block ×4, first 2 shown]
	v_add_u32_e32 v7, v2, v5
	v_xor_b32_e32 v2, v6, v9
	v_sub_u32_e32 v5, v5, v2
	v_alignbit_b32 v9, v2, v2, 28
	v_add_u32_e32 v6, v2, v7
	v_xor_b32_e32 v5, v5, v9
	s_andn2_b64 exec, exec, s[2:3]
	s_cbranch_execnz .LBB0_3
; %bb.4:
	s_or_b64 exec, exec, s[2:3]
.LBB0_5:
	s_or_b64 exec, exec, s[0:1]
	global_load_dwordx3 v[0:2], v[0:1], off
	v_cmp_lt_i32_e32 vcc, 6, v8
	s_mov_b64 s[0:1], 0
                                        ; implicit-def: $vgpr9
	s_and_saveexec_b64 s[2:3], vcc
	s_xor_b64 s[2:3], exec, s[2:3]
	s_cbranch_execnz .LBB0_11
; %bb.6:
	s_andn2_saveexec_b64 s[2:3], s[2:3]
	s_cbranch_execnz .LBB0_32
.LBB0_7:
	s_or_b64 exec, exec, s[2:3]
	s_and_saveexec_b64 s[2:3], s[0:1]
	s_cbranch_execz .LBB0_9
.LBB0_8:
	s_waitcnt vmcnt(0)
	v_xor_b32_e32 v1, v6, v9
	v_alignbit_b32 v2, v6, v6, 18
	v_add_u32_e32 v0, v0, v7
	v_sub_u32_e32 v1, v1, v2
	v_xor_b32_e32 v0, v0, v1
	v_alignbit_b32 v2, v1, v1, 21
	v_sub_u32_e32 v0, v0, v2
	v_xor_b32_e32 v2, v0, v6
	v_alignbit_b32 v5, v0, v0, 7
	;; [unrolled: 3-line block ×6, first 2 shown]
	v_sub_u32_e32 v5, v1, v0
.LBB0_9:
	s_or_b64 exec, exec, s[2:3]
	s_waitcnt vmcnt(0)
	v_mov_b32_e32 v1, s15
	v_add_co_u32_e32 v0, vcc, s14, v3
	v_addc_co_u32_e32 v1, vcc, v1, v4, vcc
	global_store_dword v[0:1], v5, off
.LBB0_10:
	s_endpgm
.LBB0_11:
	v_cmp_lt_i32_e32 vcc, 9, v8
                                        ; implicit-def: $vgpr9
	s_and_saveexec_b64 s[0:1], vcc
	s_xor_b64 s[0:1], exec, s[0:1]
	s_cbranch_execz .LBB0_21
; %bb.12:
	v_cmp_lt_i32_e32 vcc, 10, v8
                                        ; implicit-def: $vgpr9
	s_and_saveexec_b64 s[4:5], vcc
	s_xor_b64 s[4:5], exec, s[4:5]
	s_cbranch_execz .LBB0_18
; %bb.13:
	;; [unrolled: 6-line block ×3, first 2 shown]
	s_waitcnt vmcnt(0)
	v_add_u32_e32 v9, v2, v5
	v_add_u32_e32 v6, v1, v6
.LBB0_15:
	s_andn2_saveexec_b64 s[6:7], s[6:7]
	s_cbranch_execz .LBB0_17
; %bb.16:
	s_waitcnt vmcnt(0)
	v_and_b32_e32 v8, 0xffffff, v2
	v_add_u32_e32 v9, v8, v5
	v_add_u32_e32 v6, v1, v6
.LBB0_17:
	s_or_b64 exec, exec, s[6:7]
.LBB0_18:
	s_andn2_saveexec_b64 s[4:5], s[4:5]
	s_cbranch_execz .LBB0_20
; %bb.19:
	s_waitcnt vmcnt(0)
	v_add_u32_sdwa v9, v2, v5 dst_sel:DWORD dst_unused:UNUSED_PAD src0_sel:WORD_0 src1_sel:DWORD
	v_add_u32_e32 v6, v1, v6
.LBB0_20:
	s_or_b64 exec, exec, s[4:5]
                                        ; implicit-def: $vgpr8
.LBB0_21:
	s_andn2_saveexec_b64 s[0:1], s[0:1]
	s_cbranch_execz .LBB0_31
; %bb.22:
	v_cmp_lt_i32_e32 vcc, 7, v8
                                        ; implicit-def: $vgpr9
	s_and_saveexec_b64 s[4:5], vcc
	s_xor_b64 s[4:5], exec, s[4:5]
	s_cbranch_execz .LBB0_28
; %bb.23:
	v_cmp_lt_i32_e32 vcc, 8, v8
	s_waitcnt vmcnt(0)
	v_add_u32_e32 v8, v1, v6
                                        ; implicit-def: $vgpr9
	s_and_saveexec_b64 s[6:7], vcc
	s_xor_b64 s[6:7], exec, s[6:7]
; %bb.24:
	v_add_u32_sdwa v9, v2, v5 dst_sel:DWORD dst_unused:UNUSED_PAD src0_sel:BYTE_0 src1_sel:DWORD
	v_add_u32_e32 v6, v1, v6
                                        ; implicit-def: $vgpr8
; %bb.25:
	s_andn2_saveexec_b64 s[6:7], s[6:7]
; %bb.26:
	v_mov_b32_e32 v6, v8
	v_mov_b32_e32 v9, v5
; %bb.27:
	s_or_b64 exec, exec, s[6:7]
.LBB0_28:
	s_andn2_saveexec_b64 s[4:5], s[4:5]
	s_cbranch_execz .LBB0_30
; %bb.29:
	s_waitcnt vmcnt(0)
	v_and_b32_e32 v2, 0xffffff, v1
	v_add_u32_e32 v6, v2, v6
	v_mov_b32_e32 v9, v5
.LBB0_30:
	s_or_b64 exec, exec, s[4:5]
.LBB0_31:
	s_or_b64 exec, exec, s[0:1]
	s_mov_b64 s[0:1], exec
                                        ; implicit-def: $vgpr8
	s_andn2_saveexec_b64 s[2:3], s[2:3]
	s_cbranch_execz .LBB0_7
.LBB0_32:
	v_cmp_lt_i32_e32 vcc, 3, v8
	s_mov_b64 s[4:5], s[0:1]
	s_and_saveexec_b64 s[6:7], vcc
	s_xor_b64 s[6:7], exec, s[6:7]
	s_cbranch_execz .LBB0_40
; %bb.33:
	v_cmp_lt_i32_e32 vcc, 4, v8
	s_and_saveexec_b64 s[4:5], vcc
	s_cbranch_execz .LBB0_39
; %bb.34:
	v_cmp_lt_i32_e32 vcc, 5, v8
	s_and_saveexec_b64 s[8:9], vcc
	s_xor_b64 s[8:9], exec, s[8:9]
	s_cbranch_execz .LBB0_36
; %bb.35:
	s_waitcnt vmcnt(0)
	v_add_u32_sdwa v6, v1, v6 dst_sel:DWORD dst_unused:UNUSED_PAD src0_sel:WORD_0 src1_sel:DWORD
.LBB0_36:
	s_andn2_saveexec_b64 s[8:9], s[8:9]
	s_cbranch_execz .LBB0_38
; %bb.37:
	s_waitcnt vmcnt(0)
	v_add_u32_sdwa v6, v1, v6 dst_sel:DWORD dst_unused:UNUSED_PAD src0_sel:BYTE_0 src1_sel:DWORD
.LBB0_38:
	s_or_b64 exec, exec, s[8:9]
.LBB0_39:
	s_or_b64 exec, exec, s[4:5]
	s_or_b64 s[4:5], s[0:1], exec
                                        ; implicit-def: $vgpr8
.LBB0_40:
	s_andn2_saveexec_b64 s[6:7], s[6:7]
	s_cbranch_execz .LBB0_52
; %bb.41:
	v_cmp_lt_i32_e32 vcc, 1, v8
	s_mov_b64 s[8:9], s[4:5]
	s_and_saveexec_b64 s[10:11], vcc
	s_xor_b64 s[10:11], exec, s[10:11]
	s_cbranch_execz .LBB0_47
; %bb.42:
	v_cmp_lt_i32_e32 vcc, 2, v8
	s_and_saveexec_b64 s[8:9], vcc
	s_xor_b64 s[8:9], exec, s[8:9]
	s_cbranch_execz .LBB0_44
; %bb.43:
	s_waitcnt vmcnt(0)
	v_and_b32_e32 v0, 0xffffff, v0
.LBB0_44:
	s_andn2_saveexec_b64 s[8:9], s[8:9]
	s_cbranch_execz .LBB0_46
; %bb.45:
	s_waitcnt vmcnt(0)
	v_and_b32_e32 v0, 0xffff, v0
.LBB0_46:
	s_or_b64 exec, exec, s[8:9]
	s_or_b64 s[8:9], s[4:5], exec
                                        ; implicit-def: $vgpr8
.LBB0_47:
	s_andn2_saveexec_b64 s[10:11], s[10:11]
	s_cbranch_execz .LBB0_51
; %bb.48:
	v_cmp_eq_u32_e32 vcc, 1, v8
	s_mov_b64 s[12:13], s[8:9]
	s_and_saveexec_b64 s[16:17], vcc
	s_cbranch_execz .LBB0_50
; %bb.49:
	s_waitcnt vmcnt(0)
	v_and_b32_e32 v0, 0xff, v0
	s_or_b64 s[12:13], s[8:9], exec
.LBB0_50:
	s_or_b64 exec, exec, s[16:17]
	s_andn2_b64 s[8:9], s[8:9], exec
	s_and_b64 s[12:13], s[12:13], exec
	s_or_b64 s[8:9], s[8:9], s[12:13]
.LBB0_51:
	s_or_b64 exec, exec, s[10:11]
	s_andn2_b64 s[4:5], s[4:5], exec
	s_and_b64 s[8:9], s[8:9], exec
	s_or_b64 s[4:5], s[4:5], s[8:9]
.LBB0_52:
	s_or_b64 exec, exec, s[6:7]
	s_andn2_b64 s[0:1], s[0:1], exec
	s_and_b64 s[4:5], s[4:5], exec
	s_or_b64 s[0:1], s[0:1], s[4:5]
	v_mov_b32_e32 v9, v5
	s_or_b64 exec, exec, s[2:3]
	s_and_saveexec_b64 s[2:3], s[0:1]
	s_cbranch_execnz .LBB0_8
	s_branch .LBB0_9
	.section	.rodata,"a",@progbits
	.p2align	6, 0x0
	.amdhsa_kernel _Z15jk3_hash_kernelPKjS0_S0_Pji
		.amdhsa_group_segment_fixed_size 0
		.amdhsa_private_segment_fixed_size 0
		.amdhsa_kernarg_size 296
		.amdhsa_user_sgpr_count 6
		.amdhsa_user_sgpr_private_segment_buffer 1
		.amdhsa_user_sgpr_dispatch_ptr 0
		.amdhsa_user_sgpr_queue_ptr 0
		.amdhsa_user_sgpr_kernarg_segment_ptr 1
		.amdhsa_user_sgpr_dispatch_id 0
		.amdhsa_user_sgpr_flat_scratch_init 0
		.amdhsa_user_sgpr_private_segment_size 0
		.amdhsa_uses_dynamic_stack 0
		.amdhsa_system_sgpr_private_segment_wavefront_offset 0
		.amdhsa_system_sgpr_workgroup_id_x 1
		.amdhsa_system_sgpr_workgroup_id_y 0
		.amdhsa_system_sgpr_workgroup_id_z 0
		.amdhsa_system_sgpr_workgroup_info 0
		.amdhsa_system_vgpr_workitem_id 0
		.amdhsa_next_free_vgpr 12
		.amdhsa_next_free_sgpr 18
		.amdhsa_reserve_vcc 1
		.amdhsa_reserve_flat_scratch 0
		.amdhsa_float_round_mode_32 0
		.amdhsa_float_round_mode_16_64 0
		.amdhsa_float_denorm_mode_32 3
		.amdhsa_float_denorm_mode_16_64 3
		.amdhsa_dx10_clamp 1
		.amdhsa_ieee_mode 1
		.amdhsa_fp16_overflow 0
		.amdhsa_exception_fp_ieee_invalid_op 0
		.amdhsa_exception_fp_denorm_src 0
		.amdhsa_exception_fp_ieee_div_zero 0
		.amdhsa_exception_fp_ieee_overflow 0
		.amdhsa_exception_fp_ieee_underflow 0
		.amdhsa_exception_fp_ieee_inexact 0
		.amdhsa_exception_int_div_zero 0
	.end_amdhsa_kernel
	.text
.Lfunc_end0:
	.size	_Z15jk3_hash_kernelPKjS0_S0_Pji, .Lfunc_end0-_Z15jk3_hash_kernelPKjS0_S0_Pji
                                        ; -- End function
	.set _Z15jk3_hash_kernelPKjS0_S0_Pji.num_vgpr, 12
	.set _Z15jk3_hash_kernelPKjS0_S0_Pji.num_agpr, 0
	.set _Z15jk3_hash_kernelPKjS0_S0_Pji.numbered_sgpr, 18
	.set _Z15jk3_hash_kernelPKjS0_S0_Pji.num_named_barrier, 0
	.set _Z15jk3_hash_kernelPKjS0_S0_Pji.private_seg_size, 0
	.set _Z15jk3_hash_kernelPKjS0_S0_Pji.uses_vcc, 1
	.set _Z15jk3_hash_kernelPKjS0_S0_Pji.uses_flat_scratch, 0
	.set _Z15jk3_hash_kernelPKjS0_S0_Pji.has_dyn_sized_stack, 0
	.set _Z15jk3_hash_kernelPKjS0_S0_Pji.has_recursion, 0
	.set _Z15jk3_hash_kernelPKjS0_S0_Pji.has_indirect_call, 0
	.section	.AMDGPU.csdata,"",@progbits
; Kernel info:
; codeLenInByte = 1100
; TotalNumSgprs: 22
; NumVgprs: 12
; ScratchSize: 0
; MemoryBound: 0
; FloatMode: 240
; IeeeMode: 1
; LDSByteSize: 0 bytes/workgroup (compile time only)
; SGPRBlocks: 2
; VGPRBlocks: 2
; NumSGPRsForWavesPerEU: 22
; NumVGPRsForWavesPerEU: 12
; Occupancy: 10
; WaveLimiterHint : 0
; COMPUTE_PGM_RSRC2:SCRATCH_EN: 0
; COMPUTE_PGM_RSRC2:USER_SGPR: 6
; COMPUTE_PGM_RSRC2:TRAP_HANDLER: 0
; COMPUTE_PGM_RSRC2:TGID_X_EN: 1
; COMPUTE_PGM_RSRC2:TGID_Y_EN: 0
; COMPUTE_PGM_RSRC2:TGID_Z_EN: 0
; COMPUTE_PGM_RSRC2:TIDIG_COMP_CNT: 0
	.section	.AMDGPU.gpr_maximums,"",@progbits
	.set amdgpu.max_num_vgpr, 0
	.set amdgpu.max_num_agpr, 0
	.set amdgpu.max_num_sgpr, 0
	.section	.AMDGPU.csdata,"",@progbits
	.type	__hip_cuid_972fb1fe54e46a44,@object ; @__hip_cuid_972fb1fe54e46a44
	.section	.bss,"aw",@nobits
	.globl	__hip_cuid_972fb1fe54e46a44
__hip_cuid_972fb1fe54e46a44:
	.byte	0                               ; 0x0
	.size	__hip_cuid_972fb1fe54e46a44, 1

	.ident	"AMD clang version 22.0.0git (https://github.com/RadeonOpenCompute/llvm-project roc-7.2.4 26084 f58b06dce1f9c15707c5f808fd002e18c2accf7e)"
	.section	".note.GNU-stack","",@progbits
	.addrsig
	.addrsig_sym __hip_cuid_972fb1fe54e46a44
	.amdgpu_metadata
---
amdhsa.kernels:
  - .args:
      - .actual_access:  read_only
        .address_space:  global
        .offset:         0
        .size:           8
        .value_kind:     global_buffer
      - .actual_access:  read_only
        .address_space:  global
        .offset:         8
        .size:           8
        .value_kind:     global_buffer
      - .actual_access:  read_only
        .address_space:  global
        .offset:         16
        .size:           8
        .value_kind:     global_buffer
      - .actual_access:  write_only
        .address_space:  global
        .offset:         24
        .size:           8
        .value_kind:     global_buffer
      - .offset:         32
        .size:           4
        .value_kind:     by_value
      - .offset:         40
        .size:           4
        .value_kind:     hidden_block_count_x
      - .offset:         44
        .size:           4
        .value_kind:     hidden_block_count_y
      - .offset:         48
        .size:           4
        .value_kind:     hidden_block_count_z
      - .offset:         52
        .size:           2
        .value_kind:     hidden_group_size_x
      - .offset:         54
        .size:           2
        .value_kind:     hidden_group_size_y
      - .offset:         56
        .size:           2
        .value_kind:     hidden_group_size_z
      - .offset:         58
        .size:           2
        .value_kind:     hidden_remainder_x
      - .offset:         60
        .size:           2
        .value_kind:     hidden_remainder_y
      - .offset:         62
        .size:           2
        .value_kind:     hidden_remainder_z
      - .offset:         80
        .size:           8
        .value_kind:     hidden_global_offset_x
      - .offset:         88
        .size:           8
        .value_kind:     hidden_global_offset_y
      - .offset:         96
        .size:           8
        .value_kind:     hidden_global_offset_z
      - .offset:         104
        .size:           2
        .value_kind:     hidden_grid_dims
    .group_segment_fixed_size: 0
    .kernarg_segment_align: 8
    .kernarg_segment_size: 296
    .language:       OpenCL C
    .language_version:
      - 2
      - 0
    .max_flat_workgroup_size: 1024
    .name:           _Z15jk3_hash_kernelPKjS0_S0_Pji
    .private_segment_fixed_size: 0
    .sgpr_count:     22
    .sgpr_spill_count: 0
    .symbol:         _Z15jk3_hash_kernelPKjS0_S0_Pji.kd
    .uniform_work_group_size: 1
    .uses_dynamic_stack: false
    .vgpr_count:     12
    .vgpr_spill_count: 0
    .wavefront_size: 64
amdhsa.target:   amdgcn-amd-amdhsa--gfx906
amdhsa.version:
  - 1
  - 2
...

	.end_amdgpu_metadata
